;; amdgpu-corpus repo=ROCm/rocFFT kind=compiled arch=gfx1030 opt=O3
	.text
	.amdgcn_target "amdgcn-amd-amdhsa--gfx1030"
	.amdhsa_code_object_version 6
	.protected	fft_rtc_fwd_len196_factors_4_7_7_wgs_56_tpt_28_dp_ip_CI_unitstride_sbrr_R2C_dirReg ; -- Begin function fft_rtc_fwd_len196_factors_4_7_7_wgs_56_tpt_28_dp_ip_CI_unitstride_sbrr_R2C_dirReg
	.globl	fft_rtc_fwd_len196_factors_4_7_7_wgs_56_tpt_28_dp_ip_CI_unitstride_sbrr_R2C_dirReg
	.p2align	8
	.type	fft_rtc_fwd_len196_factors_4_7_7_wgs_56_tpt_28_dp_ip_CI_unitstride_sbrr_R2C_dirReg,@function
fft_rtc_fwd_len196_factors_4_7_7_wgs_56_tpt_28_dp_ip_CI_unitstride_sbrr_R2C_dirReg: ; @fft_rtc_fwd_len196_factors_4_7_7_wgs_56_tpt_28_dp_ip_CI_unitstride_sbrr_R2C_dirReg
; %bb.0:
	s_clause 0x2
	s_load_dwordx4 s[8:11], s[4:5], 0x0
	s_load_dwordx2 s[2:3], s[4:5], 0x50
	s_load_dwordx2 s[12:13], s[4:5], 0x18
	v_mul_u32_u24_e32 v1, 0x925, v0
	v_mov_b32_e32 v3, 0
	v_lshrrev_b32_e32 v9, 16, v1
	v_mov_b32_e32 v1, 0
	v_mov_b32_e32 v6, v3
	v_mov_b32_e32 v2, 0
	v_lshl_add_u32 v5, s6, 1, v9
	s_waitcnt lgkmcnt(0)
	v_cmp_lt_u64_e64 s0, s[10:11], 2
	s_and_b32 vcc_lo, exec_lo, s0
	s_cbranch_vccnz .LBB0_8
; %bb.1:
	s_load_dwordx2 s[0:1], s[4:5], 0x10
	v_mov_b32_e32 v1, 0
	s_add_u32 s6, s12, 8
	v_mov_b32_e32 v2, 0
	s_addc_u32 s7, s13, 0
	s_mov_b64 s[16:17], 1
	s_waitcnt lgkmcnt(0)
	s_add_u32 s14, s0, 8
	s_addc_u32 s15, s1, 0
.LBB0_2:                                ; =>This Inner Loop Header: Depth=1
	s_load_dwordx2 s[18:19], s[14:15], 0x0
                                        ; implicit-def: $vgpr7_vgpr8
	s_mov_b32 s0, exec_lo
	s_waitcnt lgkmcnt(0)
	v_or_b32_e32 v4, s19, v6
	v_cmpx_ne_u64_e32 0, v[3:4]
	s_xor_b32 s1, exec_lo, s0
	s_cbranch_execz .LBB0_4
; %bb.3:                                ;   in Loop: Header=BB0_2 Depth=1
	v_cvt_f32_u32_e32 v4, s18
	v_cvt_f32_u32_e32 v7, s19
	s_sub_u32 s0, 0, s18
	s_subb_u32 s20, 0, s19
	v_fmac_f32_e32 v4, 0x4f800000, v7
	v_rcp_f32_e32 v4, v4
	v_mul_f32_e32 v4, 0x5f7ffffc, v4
	v_mul_f32_e32 v7, 0x2f800000, v4
	v_trunc_f32_e32 v7, v7
	v_fmac_f32_e32 v4, 0xcf800000, v7
	v_cvt_u32_f32_e32 v7, v7
	v_cvt_u32_f32_e32 v4, v4
	v_mul_lo_u32 v8, s0, v7
	v_mul_hi_u32 v10, s0, v4
	v_mul_lo_u32 v11, s20, v4
	v_add_nc_u32_e32 v8, v10, v8
	v_mul_lo_u32 v10, s0, v4
	v_add_nc_u32_e32 v8, v8, v11
	v_mul_hi_u32 v11, v4, v10
	v_mul_lo_u32 v12, v4, v8
	v_mul_hi_u32 v13, v4, v8
	v_mul_hi_u32 v14, v7, v10
	v_mul_lo_u32 v10, v7, v10
	v_mul_hi_u32 v15, v7, v8
	v_mul_lo_u32 v8, v7, v8
	v_add_co_u32 v11, vcc_lo, v11, v12
	v_add_co_ci_u32_e32 v12, vcc_lo, 0, v13, vcc_lo
	v_add_co_u32 v10, vcc_lo, v11, v10
	v_add_co_ci_u32_e32 v10, vcc_lo, v12, v14, vcc_lo
	v_add_co_ci_u32_e32 v11, vcc_lo, 0, v15, vcc_lo
	v_add_co_u32 v8, vcc_lo, v10, v8
	v_add_co_ci_u32_e32 v10, vcc_lo, 0, v11, vcc_lo
	v_add_co_u32 v4, vcc_lo, v4, v8
	v_add_co_ci_u32_e32 v7, vcc_lo, v7, v10, vcc_lo
	v_mul_hi_u32 v8, s0, v4
	v_mul_lo_u32 v11, s20, v4
	v_mul_lo_u32 v10, s0, v7
	v_add_nc_u32_e32 v8, v8, v10
	v_mul_lo_u32 v10, s0, v4
	v_add_nc_u32_e32 v8, v8, v11
	v_mul_hi_u32 v11, v4, v10
	v_mul_lo_u32 v12, v4, v8
	v_mul_hi_u32 v13, v4, v8
	v_mul_hi_u32 v14, v7, v10
	v_mul_lo_u32 v10, v7, v10
	v_mul_hi_u32 v15, v7, v8
	v_mul_lo_u32 v8, v7, v8
	v_add_co_u32 v11, vcc_lo, v11, v12
	v_add_co_ci_u32_e32 v12, vcc_lo, 0, v13, vcc_lo
	v_add_co_u32 v10, vcc_lo, v11, v10
	v_add_co_ci_u32_e32 v10, vcc_lo, v12, v14, vcc_lo
	v_add_co_ci_u32_e32 v11, vcc_lo, 0, v15, vcc_lo
	v_add_co_u32 v8, vcc_lo, v10, v8
	v_add_co_ci_u32_e32 v10, vcc_lo, 0, v11, vcc_lo
	v_add_co_u32 v4, vcc_lo, v4, v8
	v_add_co_ci_u32_e32 v12, vcc_lo, v7, v10, vcc_lo
	v_mul_hi_u32 v14, v5, v4
	v_mad_u64_u32 v[10:11], null, v6, v4, 0
	v_mad_u64_u32 v[7:8], null, v5, v12, 0
	;; [unrolled: 1-line block ×3, first 2 shown]
	v_add_co_u32 v4, vcc_lo, v14, v7
	v_add_co_ci_u32_e32 v7, vcc_lo, 0, v8, vcc_lo
	v_add_co_u32 v4, vcc_lo, v4, v10
	v_add_co_ci_u32_e32 v4, vcc_lo, v7, v11, vcc_lo
	v_add_co_ci_u32_e32 v7, vcc_lo, 0, v13, vcc_lo
	v_add_co_u32 v4, vcc_lo, v4, v12
	v_add_co_ci_u32_e32 v10, vcc_lo, 0, v7, vcc_lo
	v_mul_lo_u32 v11, s19, v4
	v_mad_u64_u32 v[7:8], null, s18, v4, 0
	v_mul_lo_u32 v12, s18, v10
	v_sub_co_u32 v7, vcc_lo, v5, v7
	v_add3_u32 v8, v8, v12, v11
	v_sub_nc_u32_e32 v11, v6, v8
	v_subrev_co_ci_u32_e64 v11, s0, s19, v11, vcc_lo
	v_add_co_u32 v12, s0, v4, 2
	v_add_co_ci_u32_e64 v13, s0, 0, v10, s0
	v_sub_co_u32 v14, s0, v7, s18
	v_sub_co_ci_u32_e32 v8, vcc_lo, v6, v8, vcc_lo
	v_subrev_co_ci_u32_e64 v11, s0, 0, v11, s0
	v_cmp_le_u32_e32 vcc_lo, s18, v14
	v_cmp_eq_u32_e64 s0, s19, v8
	v_cndmask_b32_e64 v14, 0, -1, vcc_lo
	v_cmp_le_u32_e32 vcc_lo, s19, v11
	v_cndmask_b32_e64 v15, 0, -1, vcc_lo
	v_cmp_le_u32_e32 vcc_lo, s18, v7
	;; [unrolled: 2-line block ×3, first 2 shown]
	v_cndmask_b32_e64 v16, 0, -1, vcc_lo
	v_cmp_eq_u32_e32 vcc_lo, s19, v11
	v_cndmask_b32_e64 v7, v16, v7, s0
	v_cndmask_b32_e32 v11, v15, v14, vcc_lo
	v_add_co_u32 v14, vcc_lo, v4, 1
	v_add_co_ci_u32_e32 v15, vcc_lo, 0, v10, vcc_lo
	v_cmp_ne_u32_e32 vcc_lo, 0, v11
	v_cndmask_b32_e32 v8, v15, v13, vcc_lo
	v_cndmask_b32_e32 v11, v14, v12, vcc_lo
	v_cmp_ne_u32_e32 vcc_lo, 0, v7
	v_cndmask_b32_e32 v8, v10, v8, vcc_lo
	v_cndmask_b32_e32 v7, v4, v11, vcc_lo
.LBB0_4:                                ;   in Loop: Header=BB0_2 Depth=1
	s_andn2_saveexec_b32 s0, s1
	s_cbranch_execz .LBB0_6
; %bb.5:                                ;   in Loop: Header=BB0_2 Depth=1
	v_cvt_f32_u32_e32 v4, s18
	s_sub_i32 s1, 0, s18
	v_rcp_iflag_f32_e32 v4, v4
	v_mul_f32_e32 v4, 0x4f7ffffe, v4
	v_cvt_u32_f32_e32 v4, v4
	v_mul_lo_u32 v7, s1, v4
	v_mul_hi_u32 v7, v4, v7
	v_add_nc_u32_e32 v4, v4, v7
	v_mul_hi_u32 v4, v5, v4
	v_mul_lo_u32 v7, v4, s18
	v_add_nc_u32_e32 v8, 1, v4
	v_sub_nc_u32_e32 v7, v5, v7
	v_subrev_nc_u32_e32 v10, s18, v7
	v_cmp_le_u32_e32 vcc_lo, s18, v7
	v_cndmask_b32_e32 v7, v7, v10, vcc_lo
	v_cndmask_b32_e32 v4, v4, v8, vcc_lo
	v_cmp_le_u32_e32 vcc_lo, s18, v7
	v_add_nc_u32_e32 v8, 1, v4
	v_cndmask_b32_e32 v7, v4, v8, vcc_lo
	v_mov_b32_e32 v8, v3
.LBB0_6:                                ;   in Loop: Header=BB0_2 Depth=1
	s_or_b32 exec_lo, exec_lo, s0
	s_load_dwordx2 s[0:1], s[6:7], 0x0
	v_mul_lo_u32 v4, v8, s18
	v_mul_lo_u32 v12, v7, s19
	v_mad_u64_u32 v[10:11], null, v7, s18, 0
	s_add_u32 s16, s16, 1
	s_addc_u32 s17, s17, 0
	s_add_u32 s6, s6, 8
	s_addc_u32 s7, s7, 0
	;; [unrolled: 2-line block ×3, first 2 shown]
	v_add3_u32 v4, v11, v12, v4
	v_sub_co_u32 v5, vcc_lo, v5, v10
	v_sub_co_ci_u32_e32 v4, vcc_lo, v6, v4, vcc_lo
	s_waitcnt lgkmcnt(0)
	v_mul_lo_u32 v6, s1, v5
	v_mul_lo_u32 v4, s0, v4
	v_mad_u64_u32 v[1:2], null, s0, v5, v[1:2]
	v_cmp_ge_u64_e64 s0, s[16:17], s[10:11]
	s_and_b32 vcc_lo, exec_lo, s0
	v_add3_u32 v2, v6, v2, v4
	s_cbranch_vccnz .LBB0_9
; %bb.7:                                ;   in Loop: Header=BB0_2 Depth=1
	v_mov_b32_e32 v5, v7
	v_mov_b32_e32 v6, v8
	s_branch .LBB0_2
.LBB0_8:
	v_mov_b32_e32 v8, v6
	v_mov_b32_e32 v7, v5
.LBB0_9:
	s_lshl_b64 s[0:1], s[10:11], 3
	v_mul_hi_u32 v3, 0x924924a, v0
	s_add_u32 s0, s12, s0
	s_addc_u32 s1, s13, s1
	v_and_b32_e32 v6, 1, v9
	s_load_dwordx2 s[0:1], s[0:1], 0x0
	s_load_dwordx2 s[4:5], s[4:5], 0x20
	v_mul_u32_u24_e32 v3, 28, v3
	v_sub_nc_u32_e32 v16, v0, v3
	v_add_nc_u32_e32 v20, 28, v16
	s_waitcnt lgkmcnt(0)
	v_mul_lo_u32 v4, s0, v8
	v_mul_lo_u32 v5, s1, v7
	v_mad_u64_u32 v[1:2], null, s0, v7, v[1:2]
	v_cmp_gt_u64_e32 vcc_lo, s[4:5], v[7:8]
	v_cmp_le_u64_e64 s1, s[4:5], v[7:8]
	v_cmp_eq_u32_e64 s0, 1, v6
	v_add3_u32 v2, v5, v2, v4
	s_and_saveexec_b32 s4, s1
	s_xor_b32 s1, exec_lo, s4
; %bb.10:
	v_add_nc_u32_e32 v20, 28, v16
; %bb.11:
	s_or_saveexec_b32 s1, s1
	v_cndmask_b32_e64 v0, 0, 0xc5, s0
	v_lshlrev_b64 v[18:19], 4, v[1:2]
	v_lshlrev_b32_e32 v21, 4, v16
	v_lshlrev_b32_e32 v24, 4, v0
	s_xor_b32 exec_lo, exec_lo, s1
	s_cbranch_execz .LBB0_13
; %bb.12:
	v_mov_b32_e32 v17, 0
	v_add_co_u32 v2, s0, s2, v18
	v_add_co_ci_u32_e64 v3, s0, s3, v19, s0
	v_lshlrev_b64 v[0:1], 4, v[16:17]
	v_add3_u32 v17, 0, v24, v21
	v_add_co_u32 v22, s0, v2, v0
	v_add_co_ci_u32_e64 v23, s0, v3, v1, s0
	v_add_co_u32 v33, s0, 0x800, v22
	v_add_co_ci_u32_e64 v34, s0, 0, v23, s0
	s_clause 0x6
	global_load_dwordx4 v[0:3], v[22:23], off
	global_load_dwordx4 v[4:7], v[22:23], off offset:448
	global_load_dwordx4 v[8:11], v[22:23], off offset:896
	;; [unrolled: 1-line block ×6, first 2 shown]
	s_waitcnt vmcnt(6)
	ds_write_b128 v17, v[0:3]
	s_waitcnt vmcnt(5)
	ds_write_b128 v17, v[4:7] offset:448
	s_waitcnt vmcnt(4)
	ds_write_b128 v17, v[8:11] offset:896
	;; [unrolled: 2-line block ×6, first 2 shown]
.LBB0_13:
	s_or_b32 exec_lo, exec_lo, s1
	v_add_nc_u32_e32 v23, 0, v24
	v_add3_u32 v17, 0, v21, v24
	s_waitcnt lgkmcnt(0)
	s_barrier
	buffer_gl0_inv
	v_add_nc_u32_e32 v22, v23, v21
	s_mov_b32 s1, exec_lo
	ds_read_b128 v[25:28], v17 offset:2352
	ds_read_b128 v[29:32], v17 offset:784
	;; [unrolled: 1-line block ×3, first 2 shown]
	ds_read_b128 v[37:40], v22
	ds_read_b128 v[0:3], v17 offset:1232
	ds_read_b128 v[8:11], v17 offset:2016
	;; [unrolled: 1-line block ×4, first 2 shown]
	s_waitcnt lgkmcnt(0)
	s_barrier
	buffer_gl0_inv
	v_add_f64 v[41:42], v[29:30], -v[25:26]
	v_add_f64 v[25:26], v[31:32], -v[27:28]
	;; [unrolled: 1-line block ×4, first 2 shown]
	v_fma_f64 v[29:30], v[29:30], 2.0, -v[41:42]
	v_fma_f64 v[31:32], v[31:32], 2.0, -v[25:26]
	;; [unrolled: 1-line block ×4, first 2 shown]
	v_add_f64 v[25:26], v[33:34], -v[25:26]
	v_add_f64 v[27:28], v[35:36], v[41:42]
	v_mad_u32_u24 v41, v16, 48, v17
	v_add_f64 v[29:30], v[37:38], -v[29:30]
	v_add_f64 v[31:32], v[39:40], -v[31:32]
	v_fma_f64 v[33:34], v[33:34], 2.0, -v[25:26]
	v_fma_f64 v[35:36], v[35:36], 2.0, -v[27:28]
	;; [unrolled: 1-line block ×4, first 2 shown]
	ds_write_b128 v41, v[33:36] offset:16
	ds_write_b128 v41, v[29:32] offset:32
	ds_write_b128 v41, v[37:40]
	ds_write_b128 v41, v[25:28] offset:48
	v_cmpx_gt_u32_e32 21, v16
	s_cbranch_execz .LBB0_15
; %bb.14:
	v_add_f64 v[10:11], v[6:7], -v[10:11]
	v_add_f64 v[14:15], v[2:3], -v[14:15]
	;; [unrolled: 1-line block ×4, first 2 shown]
	v_fma_f64 v[25:26], v[6:7], 2.0, -v[10:11]
	v_fma_f64 v[6:7], v[2:3], 2.0, -v[14:15]
	v_fma_f64 v[27:28], v[4:5], 2.0, -v[8:9]
	v_fma_f64 v[4:5], v[0:1], 2.0, -v[12:13]
	v_add_f64 v[2:3], v[10:11], v[12:13]
	v_add_f64 v[0:1], v[8:9], -v[14:15]
	v_add_f64 v[6:7], v[25:26], -v[6:7]
	;; [unrolled: 1-line block ×3, first 2 shown]
	v_fma_f64 v[10:11], v[10:11], 2.0, -v[2:3]
	v_fma_f64 v[8:9], v[8:9], 2.0, -v[0:1]
	;; [unrolled: 1-line block ×3, first 2 shown]
	v_lshlrev_b32_e32 v25, 6, v20
	v_fma_f64 v[12:13], v[27:28], 2.0, -v[4:5]
	v_add3_u32 v25, 0, v25, v24
	ds_write_b128 v25, v[8:11] offset:16
	ds_write_b128 v25, v[4:7] offset:32
	ds_write_b128 v25, v[12:15]
	ds_write_b128 v25, v[0:3] offset:48
.LBB0_15:
	s_or_b32 exec_lo, exec_lo, s1
	v_and_b32_e32 v57, 3, v16
	s_waitcnt lgkmcnt(0)
	s_barrier
	buffer_gl0_inv
	v_lshlrev_b32_e32 v33, 4, v20
	v_mul_u32_u24_e32 v0, 6, v57
	s_mov_b32 s4, 0x37e14327
	s_mov_b32 s12, 0xe976ee23
	;; [unrolled: 1-line block ×3, first 2 shown]
	v_add3_u32 v58, 0, v33, v24
	v_lshlrev_b32_e32 v29, 4, v0
	s_mov_b32 s13, 0xbfe11646
	s_mov_b32 s6, 0x429ad128
	;; [unrolled: 1-line block ×4, first 2 shown]
	s_clause 0x5
	global_load_dwordx4 v[0:3], v29, s[8:9]
	global_load_dwordx4 v[4:7], v29, s[8:9] offset:16
	global_load_dwordx4 v[8:11], v29, s[8:9] offset:80
	;; [unrolled: 1-line block ×5, first 2 shown]
	ds_read_b128 v[33:36], v58
	ds_read_b128 v[37:40], v17 offset:896
	ds_read_b128 v[41:44], v17 offset:2688
	;; [unrolled: 1-line block ×3, first 2 shown]
	s_mov_b32 s1, 0x3fac98ee
	s_mov_b32 s10, 0xaaaaaaaa
	;; [unrolled: 1-line block ×13, first 2 shown]
	s_waitcnt vmcnt(5) lgkmcnt(3)
	v_mul_f64 v[49:50], v[35:36], v[2:3]
	s_waitcnt vmcnt(4) lgkmcnt(2)
	v_mul_f64 v[51:52], v[39:40], v[6:7]
	v_mul_f64 v[2:3], v[33:34], v[2:3]
	v_mul_f64 v[6:7], v[37:38], v[6:7]
	v_fma_f64 v[33:34], v[33:34], v[0:1], -v[49:50]
	s_waitcnt vmcnt(3) lgkmcnt(1)
	v_mul_f64 v[49:50], v[43:44], v[10:11]
	v_mul_f64 v[10:11], v[41:42], v[10:11]
	v_fma_f64 v[37:38], v[37:38], v[4:5], -v[51:52]
	s_waitcnt vmcnt(2) lgkmcnt(0)
	v_mul_f64 v[51:52], v[47:48], v[14:15]
	v_mul_f64 v[14:15], v[45:46], v[14:15]
	v_fma_f64 v[35:36], v[35:36], v[0:1], v[2:3]
	ds_read_b128 v[0:3], v17 offset:1344
	v_fma_f64 v[39:40], v[39:40], v[4:5], v[6:7]
	ds_read_b128 v[4:7], v17 offset:1792
	v_fma_f64 v[41:42], v[41:42], v[8:9], -v[49:50]
	v_fma_f64 v[8:9], v[43:44], v[8:9], v[10:11]
	v_fma_f64 v[45:46], v[45:46], v[12:13], -v[51:52]
	s_waitcnt vmcnt(1) lgkmcnt(1)
	v_mul_f64 v[10:11], v[2:3], v[27:28]
	v_mul_f64 v[27:28], v[0:1], v[27:28]
	s_waitcnt vmcnt(0) lgkmcnt(0)
	v_mul_f64 v[43:44], v[6:7], v[31:32]
	v_mul_f64 v[31:32], v[4:5], v[31:32]
	v_fma_f64 v[12:13], v[47:48], v[12:13], v[14:15]
	v_add_f64 v[14:15], v[35:36], v[8:9]
	v_add_f64 v[8:9], v[35:36], -v[8:9]
	v_fma_f64 v[0:1], v[0:1], v[25:26], -v[10:11]
	v_fma_f64 v[2:3], v[2:3], v[25:26], v[27:28]
	v_fma_f64 v[4:5], v[4:5], v[29:30], -v[43:44]
	v_fma_f64 v[6:7], v[6:7], v[29:30], v[31:32]
	v_add_f64 v[10:11], v[33:34], v[41:42]
	v_add_f64 v[25:26], v[37:38], v[45:46]
	;; [unrolled: 1-line block ×3, first 2 shown]
	v_add_f64 v[29:30], v[37:38], -v[45:46]
	v_add_f64 v[12:13], v[39:40], -v[12:13]
	;; [unrolled: 1-line block ×3, first 2 shown]
	v_add_f64 v[31:32], v[0:1], v[4:5]
	v_add_f64 v[37:38], v[2:3], v[6:7]
	v_add_f64 v[4:5], v[4:5], -v[0:1]
	v_add_f64 v[6:7], v[6:7], -v[2:3]
	v_add_f64 v[39:40], v[25:26], v[10:11]
	v_add_f64 v[43:44], v[27:28], v[14:15]
	v_add_f64 v[51:52], v[12:13], -v[8:9]
	v_add_f64 v[49:50], v[29:30], -v[33:34]
	ds_read_b128 v[0:3], v22
	s_waitcnt lgkmcnt(0)
	s_barrier
	buffer_gl0_inv
	v_add_f64 v[35:36], v[10:11], -v[31:32]
	v_add_f64 v[41:42], v[14:15], -v[37:38]
	v_add_f64 v[45:46], v[4:5], -v[29:30]
	v_add_f64 v[47:48], v[6:7], -v[12:13]
	v_add_f64 v[39:40], v[31:32], v[39:40]
	v_add_f64 v[43:44], v[37:38], v[43:44]
	v_add_f64 v[31:32], v[31:32], -v[25:26]
	v_add_f64 v[37:38], v[37:38], -v[27:28]
	v_add_f64 v[29:30], v[4:5], v[29:30]
	v_add_f64 v[12:13], v[6:7], v[12:13]
	v_add_f64 v[4:5], v[33:34], -v[4:5]
	v_add_f64 v[6:7], v[8:9], -v[6:7]
	v_mul_f64 v[53:54], v[49:50], s[6:7]
	v_mul_f64 v[55:56], v[51:52], s[6:7]
	v_add_f64 v[10:11], v[25:26], -v[10:11]
	v_add_f64 v[14:15], v[27:28], -v[14:15]
	v_mul_f64 v[35:36], v[35:36], s[4:5]
	v_mul_f64 v[41:42], v[41:42], s[4:5]
	;; [unrolled: 1-line block ×4, first 2 shown]
	v_add_f64 v[0:1], v[0:1], v[39:40]
	v_add_f64 v[2:3], v[2:3], v[43:44]
	v_mul_f64 v[25:26], v[31:32], s[0:1]
	v_mul_f64 v[27:28], v[37:38], s[0:1]
	v_add_f64 v[29:30], v[29:30], v[33:34]
	v_add_f64 v[8:9], v[12:13], v[8:9]
	v_fma_f64 v[12:13], v[31:32], s[0:1], v[35:36]
	v_fma_f64 v[31:32], v[37:38], s[0:1], v[41:42]
	;; [unrolled: 1-line block ×4, first 2 shown]
	v_fma_f64 v[45:46], v[49:50], s[6:7], -v[45:46]
	v_fma_f64 v[47:48], v[51:52], s[6:7], -v[47:48]
	v_fma_f64 v[39:40], v[39:40], s[10:11], v[0:1]
	v_fma_f64 v[43:44], v[43:44], s[10:11], v[2:3]
	v_fma_f64 v[4:5], v[4:5], s[20:21], -v[53:54]
	v_fma_f64 v[6:7], v[6:7], s[20:21], -v[55:56]
	;; [unrolled: 1-line block ×6, first 2 shown]
	v_fma_f64 v[49:50], v[29:30], s[22:23], v[33:34]
	v_fma_f64 v[33:34], v[8:9], s[22:23], v[37:38]
	;; [unrolled: 1-line block ×4, first 2 shown]
	v_add_f64 v[45:46], v[12:13], v[39:40]
	v_add_f64 v[47:48], v[31:32], v[43:44]
	v_fma_f64 v[37:38], v[29:30], s[22:23], v[4:5]
	v_fma_f64 v[29:30], v[8:9], s[22:23], v[6:7]
	v_add_f64 v[31:32], v[35:36], v[39:40]
	v_add_f64 v[35:36], v[41:42], v[43:44]
	;; [unrolled: 1-line block ×4, first 2 shown]
	v_lshrrev_b32_e32 v4, 2, v16
	v_mul_u32_u24_e32 v43, 28, v4
	v_add_f64 v[4:5], v[33:34], v[45:46]
	v_add_f64 v[6:7], v[47:48], -v[49:50]
	v_add_f64 v[33:34], v[45:46], -v[33:34]
	v_add_f64 v[8:9], v[29:30], v[31:32]
	v_add_f64 v[10:11], v[35:36], -v[37:38]
	v_add_f64 v[12:13], v[39:40], -v[25:26]
	v_add_f64 v[14:15], v[27:28], v[41:42]
	v_add_f64 v[25:26], v[25:26], v[39:40]
	v_add_f64 v[27:28], v[41:42], -v[27:28]
	v_add_f64 v[29:30], v[31:32], -v[29:30]
	v_add_f64 v[31:32], v[37:38], v[35:36]
	v_add_f64 v[35:36], v[49:50], v[47:48]
	v_or_b32_e32 v37, v43, v57
	v_mul_u32_u24_e32 v38, 6, v16
	v_lshlrev_b32_e32 v37, 4, v37
	v_add3_u32 v24, 0, v37, v24
	v_lshlrev_b32_e32 v37, 4, v38
	ds_write_b128 v24, v[0:3]
	ds_write_b128 v24, v[4:7] offset:64
	ds_write_b128 v24, v[8:11] offset:128
	;; [unrolled: 1-line block ×6, first 2 shown]
	s_waitcnt lgkmcnt(0)
	s_barrier
	buffer_gl0_inv
	s_clause 0x5
	global_load_dwordx4 v[0:3], v37, s[8:9] offset:384
	global_load_dwordx4 v[4:7], v37, s[8:9] offset:400
	;; [unrolled: 1-line block ×6, first 2 shown]
	ds_read_b128 v[32:35], v58
	ds_read_b128 v[36:39], v17 offset:896
	ds_read_b128 v[40:43], v17 offset:2688
	;; [unrolled: 1-line block ×3, first 2 shown]
	s_waitcnt vmcnt(5) lgkmcnt(3)
	v_mul_f64 v[48:49], v[34:35], v[2:3]
	s_waitcnt vmcnt(4) lgkmcnt(2)
	v_mul_f64 v[50:51], v[38:39], v[6:7]
	v_mul_f64 v[6:7], v[36:37], v[6:7]
	;; [unrolled: 1-line block ×3, first 2 shown]
	s_waitcnt vmcnt(3) lgkmcnt(1)
	v_mul_f64 v[52:53], v[42:43], v[10:11]
	v_mul_f64 v[10:11], v[40:41], v[10:11]
	v_fma_f64 v[48:49], v[32:33], v[0:1], -v[48:49]
	v_fma_f64 v[36:37], v[36:37], v[4:5], -v[50:51]
	v_fma_f64 v[4:5], v[38:39], v[4:5], v[6:7]
	s_waitcnt vmcnt(2) lgkmcnt(0)
	v_mul_f64 v[6:7], v[46:47], v[14:15]
	v_mul_f64 v[14:15], v[44:45], v[14:15]
	v_fma_f64 v[54:55], v[34:35], v[0:1], v[2:3]
	ds_read_b128 v[0:3], v17 offset:1344
	ds_read_b128 v[32:35], v17 offset:1792
	v_fma_f64 v[40:41], v[40:41], v[8:9], -v[52:53]
	v_fma_f64 v[8:9], v[42:43], v[8:9], v[10:11]
	v_fma_f64 v[6:7], v[44:45], v[12:13], -v[6:7]
	s_waitcnt vmcnt(1) lgkmcnt(1)
	v_mul_f64 v[38:39], v[2:3], v[26:27]
	v_mul_f64 v[26:27], v[0:1], v[26:27]
	s_waitcnt vmcnt(0) lgkmcnt(0)
	v_mul_f64 v[10:11], v[34:35], v[30:31]
	v_mul_f64 v[30:31], v[32:33], v[30:31]
	v_fma_f64 v[12:13], v[46:47], v[12:13], v[14:15]
	v_fma_f64 v[0:1], v[0:1], v[24:25], -v[38:39]
	v_fma_f64 v[2:3], v[2:3], v[24:25], v[26:27]
	v_fma_f64 v[10:11], v[32:33], v[28:29], -v[10:11]
	v_fma_f64 v[14:15], v[34:35], v[28:29], v[30:31]
	v_add_f64 v[24:25], v[48:49], v[40:41]
	v_add_f64 v[26:27], v[54:55], v[8:9]
	v_add_f64 v[28:29], v[36:37], v[6:7]
	v_add_f64 v[30:31], v[4:5], v[12:13]
	v_add_f64 v[6:7], v[36:37], -v[6:7]
	v_add_f64 v[4:5], v[4:5], -v[12:13]
	;; [unrolled: 1-line block ×4, first 2 shown]
	v_add_f64 v[12:13], v[0:1], v[10:11]
	v_add_f64 v[32:33], v[2:3], v[14:15]
	v_add_f64 v[10:11], v[10:11], -v[0:1]
	v_add_f64 v[14:15], v[14:15], -v[2:3]
	v_add_f64 v[0:1], v[28:29], v[24:25]
	v_add_f64 v[2:3], v[30:31], v[26:27]
	v_add_f64 v[44:45], v[6:7], -v[34:35]
	v_add_f64 v[46:47], v[4:5], -v[8:9]
	;; [unrolled: 1-line block ×6, first 2 shown]
	v_add_f64 v[48:49], v[12:13], v[0:1]
	v_add_f64 v[50:51], v[32:33], v[2:3]
	ds_read_b128 v[0:3], v22
	v_add_f64 v[12:13], v[12:13], -v[28:29]
	v_add_f64 v[32:33], v[32:33], -v[30:31]
	v_add_f64 v[6:7], v[10:11], v[6:7]
	v_add_f64 v[4:5], v[14:15], v[4:5]
	v_add_f64 v[10:11], v[34:35], -v[10:11]
	v_add_f64 v[14:15], v[8:9], -v[14:15]
	v_mul_f64 v[52:53], v[44:45], s[6:7]
	v_mul_f64 v[54:55], v[46:47], s[6:7]
	v_add_f64 v[24:25], v[28:29], -v[24:25]
	v_add_f64 v[26:27], v[30:31], -v[26:27]
	s_waitcnt lgkmcnt(0)
	s_barrier
	buffer_gl0_inv
	v_mul_f64 v[36:37], v[36:37], s[4:5]
	v_mul_f64 v[38:39], v[38:39], s[4:5]
	;; [unrolled: 1-line block ×4, first 2 shown]
	v_add_f64 v[0:1], v[0:1], v[48:49]
	v_add_f64 v[2:3], v[2:3], v[50:51]
	s_mov_b32 s5, exec_lo
	v_mul_f64 v[28:29], v[12:13], s[0:1]
	v_mul_f64 v[30:31], v[32:33], s[0:1]
	v_add_f64 v[6:7], v[6:7], v[34:35]
	v_add_f64 v[4:5], v[4:5], v[8:9]
	v_fma_f64 v[8:9], v[12:13], s[0:1], v[36:37]
	v_fma_f64 v[12:13], v[32:33], s[0:1], v[38:39]
	;; [unrolled: 1-line block ×4, first 2 shown]
	v_fma_f64 v[40:41], v[44:45], s[6:7], -v[40:41]
	v_fma_f64 v[42:43], v[46:47], s[6:7], -v[42:43]
	v_fma_f64 v[44:45], v[48:49], s[10:11], v[0:1]
	v_fma_f64 v[46:47], v[50:51], s[10:11], v[2:3]
	v_fma_f64 v[10:11], v[10:11], s[20:21], -v[52:53]
	v_fma_f64 v[14:15], v[14:15], s[20:21], -v[54:55]
	;; [unrolled: 1-line block ×6, first 2 shown]
	s_add_u32 s1, s8, 0xc00
	s_addc_u32 s4, s9, 0
	v_fma_f64 v[48:49], v[6:7], s[22:23], v[32:33]
	v_fma_f64 v[32:33], v[4:5], s[22:23], v[34:35]
	;; [unrolled: 1-line block ×4, first 2 shown]
	v_add_f64 v[42:43], v[8:9], v[44:45]
	v_add_f64 v[50:51], v[12:13], v[46:47]
	v_fma_f64 v[34:35], v[6:7], s[22:23], v[10:11]
	v_fma_f64 v[40:41], v[4:5], s[22:23], v[14:15]
	v_add_f64 v[36:37], v[36:37], v[44:45]
	v_add_f64 v[38:39], v[38:39], v[46:47]
	;; [unrolled: 1-line block ×5, first 2 shown]
	v_add_f64 v[6:7], v[50:51], -v[48:49]
	v_add_f64 v[32:33], v[42:43], -v[32:33]
	v_add_f64 v[8:9], v[40:41], v[36:37]
	v_add_f64 v[10:11], v[38:39], -v[34:35]
	v_add_f64 v[12:13], v[24:25], -v[30:31]
	v_add_f64 v[14:15], v[28:29], v[26:27]
	v_add_f64 v[24:25], v[30:31], v[24:25]
	v_add_f64 v[26:27], v[26:27], -v[28:29]
	v_add_f64 v[28:29], v[36:37], -v[40:41]
	v_add_f64 v[30:31], v[34:35], v[38:39]
	v_add_f64 v[34:35], v[48:49], v[50:51]
	ds_write_b128 v17, v[0:3]
	ds_write_b128 v17, v[4:7] offset:448
	ds_write_b128 v17, v[8:11] offset:896
	;; [unrolled: 1-line block ×6, first 2 shown]
	s_waitcnt lgkmcnt(0)
	s_barrier
	buffer_gl0_inv
	ds_read_b128 v[4:7], v22
	v_sub_nc_u32_e32 v12, v23, v21
                                        ; implicit-def: $vgpr2_vgpr3
                                        ; implicit-def: $vgpr8_vgpr9
                                        ; implicit-def: $vgpr10_vgpr11
	v_cmpx_ne_u32_e32 0, v16
	s_xor_b32 s5, exec_lo, s5
	s_cbranch_execz .LBB0_17
; %bb.16:
	v_mov_b32_e32 v17, 0
	v_lshlrev_b64 v[0:1], 4, v[16:17]
	v_add_co_u32 v0, s0, s1, v0
	v_add_co_ci_u32_e64 v1, s0, s4, v1, s0
	global_load_dwordx4 v[24:27], v[0:1], off
	ds_read_b128 v[0:3], v12 offset:3136
	s_waitcnt lgkmcnt(0)
	v_add_f64 v[8:9], v[4:5], -v[0:1]
	v_add_f64 v[10:11], v[6:7], v[2:3]
	v_add_f64 v[2:3], v[6:7], -v[2:3]
	v_add_f64 v[0:1], v[4:5], v[0:1]
	v_mul_f64 v[6:7], v[8:9], 0.5
	v_mul_f64 v[4:5], v[10:11], 0.5
	;; [unrolled: 1-line block ×3, first 2 shown]
	s_waitcnt vmcnt(0)
	v_mul_f64 v[8:9], v[6:7], v[26:27]
	v_fma_f64 v[10:11], v[4:5], v[26:27], v[2:3]
	v_fma_f64 v[2:3], v[4:5], v[26:27], -v[2:3]
	v_fma_f64 v[13:14], v[0:1], 0.5, v[8:9]
	v_fma_f64 v[0:1], v[0:1], 0.5, -v[8:9]
	v_fma_f64 v[8:9], -v[24:25], v[6:7], v[10:11]
	v_mov_b32_e32 v10, v16
	v_fma_f64 v[2:3], -v[24:25], v[6:7], v[2:3]
	v_mov_b32_e32 v11, v17
	v_fma_f64 v[13:14], v[4:5], v[24:25], v[13:14]
	v_fma_f64 v[0:1], -v[4:5], v[24:25], v[0:1]
                                        ; implicit-def: $vgpr4_vgpr5
	ds_write_b64 v22, v[13:14]
.LBB0_17:
	s_andn2_saveexec_b32 s0, s5
	s_cbranch_execz .LBB0_19
; %bb.18:
	ds_read_b64 v[13:14], v23 offset:1576
	s_waitcnt lgkmcnt(1)
	v_add_f64 v[24:25], v[4:5], v[6:7]
	v_add_f64 v[0:1], v[4:5], -v[6:7]
	v_mov_b32_e32 v8, 0
	v_mov_b32_e32 v9, 0
	;; [unrolled: 1-line block ×6, first 2 shown]
	s_waitcnt lgkmcnt(0)
	v_xor_b32_e32 v14, 0x80000000, v14
	ds_write_b64 v22, v[24:25]
	ds_write_b64 v23, v[13:14] offset:1576
.LBB0_19:
	s_or_b32 exec_lo, exec_lo, s0
	v_mov_b32_e32 v21, 0
	v_lshl_add_u32 v15, v20, 4, v23
	s_waitcnt lgkmcnt(0)
	v_lshlrev_b64 v[4:5], 4, v[20:21]
	v_add_co_u32 v4, s0, s1, v4
	v_add_co_ci_u32_e64 v5, s0, s4, v5, s0
	global_load_dwordx4 v[24:27], v[4:5], off
	v_lshlrev_b64 v[4:5], 4, v[10:11]
	v_add_co_u32 v6, s0, s1, v4
	v_add_co_ci_u32_e64 v7, s0, s4, v5, s0
	s_mov_b32 s1, exec_lo
	global_load_dwordx4 v[28:31], v[6:7], off offset:896
	ds_write_b64 v22, v[8:9] offset:8
	ds_write_b128 v12, v[0:3] offset:3136
	ds_read_b128 v[0:3], v12 offset:2688
	ds_read_b128 v[8:11], v15
	s_waitcnt lgkmcnt(0)
	v_add_f64 v[13:14], v[8:9], -v[0:1]
	v_add_f64 v[20:21], v[10:11], v[2:3]
	v_add_f64 v[2:3], v[10:11], -v[2:3]
	v_add_f64 v[0:1], v[8:9], v[0:1]
	v_mul_f64 v[10:11], v[13:14], 0.5
	v_mul_f64 v[13:14], v[20:21], 0.5
	;; [unrolled: 1-line block ×3, first 2 shown]
	s_waitcnt vmcnt(1)
	v_mul_f64 v[8:9], v[10:11], v[26:27]
	v_fma_f64 v[20:21], v[13:14], v[26:27], v[2:3]
	v_fma_f64 v[26:27], v[13:14], v[26:27], -v[2:3]
	v_fma_f64 v[32:33], v[0:1], 0.5, v[8:9]
	v_fma_f64 v[8:9], v[0:1], 0.5, -v[8:9]
	v_fma_f64 v[2:3], -v[24:25], v[10:11], v[20:21]
	v_fma_f64 v[10:11], -v[24:25], v[10:11], v[26:27]
	v_fma_f64 v[0:1], v[13:14], v[24:25], v[32:33]
	v_fma_f64 v[8:9], -v[13:14], v[24:25], v[8:9]
	ds_write_b128 v15, v[0:3]
	ds_write_b128 v12, v[8:11] offset:2688
	ds_read_b128 v[0:3], v22 offset:896
	ds_read_b128 v[8:11], v12 offset:2240
	s_waitcnt lgkmcnt(0)
	v_add_f64 v[13:14], v[0:1], -v[8:9]
	v_add_f64 v[20:21], v[2:3], v[10:11]
	v_add_f64 v[2:3], v[2:3], -v[10:11]
	v_add_f64 v[0:1], v[0:1], v[8:9]
	v_mul_f64 v[10:11], v[13:14], 0.5
	v_mul_f64 v[13:14], v[20:21], 0.5
	;; [unrolled: 1-line block ×3, first 2 shown]
	s_waitcnt vmcnt(0)
	v_mul_f64 v[8:9], v[10:11], v[30:31]
	v_fma_f64 v[20:21], v[13:14], v[30:31], v[2:3]
	v_fma_f64 v[23:24], v[13:14], v[30:31], -v[2:3]
	v_fma_f64 v[25:26], v[0:1], 0.5, v[8:9]
	v_fma_f64 v[8:9], v[0:1], 0.5, -v[8:9]
	v_fma_f64 v[2:3], -v[28:29], v[10:11], v[20:21]
	v_fma_f64 v[10:11], -v[28:29], v[10:11], v[23:24]
	v_fma_f64 v[0:1], v[13:14], v[28:29], v[25:26]
	v_fma_f64 v[8:9], -v[13:14], v[28:29], v[8:9]
	ds_write_b128 v22, v[0:3] offset:896
	ds_write_b128 v12, v[8:11] offset:2240
	v_cmpx_gt_u32_e32 14, v16
	s_cbranch_execz .LBB0_21
; %bb.20:
	global_load_dwordx4 v[0:3], v[6:7], off offset:1344
	ds_read_b128 v[6:9], v22 offset:1344
	ds_read_b128 v[23:26], v12 offset:1792
	s_waitcnt lgkmcnt(0)
	v_add_f64 v[10:11], v[6:7], -v[23:24]
	v_add_f64 v[13:14], v[8:9], v[25:26]
	v_add_f64 v[8:9], v[8:9], -v[25:26]
	v_add_f64 v[6:7], v[6:7], v[23:24]
	v_mul_f64 v[10:11], v[10:11], 0.5
	v_mul_f64 v[13:14], v[13:14], 0.5
	;; [unrolled: 1-line block ×3, first 2 shown]
	s_waitcnt vmcnt(0)
	v_mul_f64 v[20:21], v[10:11], v[2:3]
	v_fma_f64 v[23:24], v[13:14], v[2:3], v[8:9]
	v_fma_f64 v[2:3], v[13:14], v[2:3], -v[8:9]
	v_fma_f64 v[25:26], v[6:7], 0.5, v[20:21]
	v_fma_f64 v[20:21], v[6:7], 0.5, -v[20:21]
	v_fma_f64 v[8:9], -v[0:1], v[10:11], v[23:24]
	v_fma_f64 v[2:3], -v[0:1], v[10:11], v[2:3]
	v_fma_f64 v[6:7], v[13:14], v[0:1], v[25:26]
	v_fma_f64 v[0:1], -v[13:14], v[0:1], v[20:21]
	ds_write_b128 v22, v[6:9] offset:1344
	ds_write_b128 v12, v[0:3] offset:1792
.LBB0_21:
	s_or_b32 exec_lo, exec_lo, s1
	s_waitcnt lgkmcnt(0)
	s_barrier
	buffer_gl0_inv
	s_and_saveexec_b32 s0, vcc_lo
	s_cbranch_execz .LBB0_24
; %bb.22:
	ds_read_b128 v[6:9], v22
	ds_read_b128 v[10:13], v22 offset:448
	ds_read_b128 v[23:26], v22 offset:896
	;; [unrolled: 1-line block ×6, first 2 shown]
	v_add_co_u32 v0, vcc_lo, s2, v18
	v_add_co_ci_u32_e32 v1, vcc_lo, s3, v19, vcc_lo
	v_add_co_u32 v2, vcc_lo, v0, v4
	v_add_co_ci_u32_e32 v3, vcc_lo, v1, v5, vcc_lo
	s_waitcnt lgkmcnt(6)
	global_store_dwordx4 v[2:3], v[6:9], off
	s_waitcnt lgkmcnt(5)
	global_store_dwordx4 v[2:3], v[10:13], off offset:448
	s_waitcnt lgkmcnt(4)
	global_store_dwordx4 v[2:3], v[23:26], off offset:896
	v_add_co_u32 v4, vcc_lo, 0x800, v2
	v_add_co_ci_u32_e32 v5, vcc_lo, 0, v3, vcc_lo
	v_cmp_eq_u32_e32 vcc_lo, 27, v16
	s_waitcnt lgkmcnt(3)
	global_store_dwordx4 v[2:3], v[27:30], off offset:1344
	s_waitcnt lgkmcnt(2)
	global_store_dwordx4 v[2:3], v[31:34], off offset:1792
	s_waitcnt lgkmcnt(1)
	global_store_dwordx4 v[4:5], v[35:38], off offset:192
	s_waitcnt lgkmcnt(0)
	global_store_dwordx4 v[4:5], v[39:42], off offset:640
	s_and_b32 exec_lo, exec_lo, vcc_lo
	s_cbranch_execz .LBB0_24
; %bb.23:
	ds_read_b128 v[2:5], v22 offset:2704
	v_add_co_u32 v0, vcc_lo, 0x800, v0
	v_add_co_ci_u32_e32 v1, vcc_lo, 0, v1, vcc_lo
	s_waitcnt lgkmcnt(0)
	global_store_dwordx4 v[0:1], v[2:5], off offset:1088
.LBB0_24:
	s_endpgm
	.section	.rodata,"a",@progbits
	.p2align	6, 0x0
	.amdhsa_kernel fft_rtc_fwd_len196_factors_4_7_7_wgs_56_tpt_28_dp_ip_CI_unitstride_sbrr_R2C_dirReg
		.amdhsa_group_segment_fixed_size 0
		.amdhsa_private_segment_fixed_size 0
		.amdhsa_kernarg_size 88
		.amdhsa_user_sgpr_count 6
		.amdhsa_user_sgpr_private_segment_buffer 1
		.amdhsa_user_sgpr_dispatch_ptr 0
		.amdhsa_user_sgpr_queue_ptr 0
		.amdhsa_user_sgpr_kernarg_segment_ptr 1
		.amdhsa_user_sgpr_dispatch_id 0
		.amdhsa_user_sgpr_flat_scratch_init 0
		.amdhsa_user_sgpr_private_segment_size 0
		.amdhsa_wavefront_size32 1
		.amdhsa_uses_dynamic_stack 0
		.amdhsa_system_sgpr_private_segment_wavefront_offset 0
		.amdhsa_system_sgpr_workgroup_id_x 1
		.amdhsa_system_sgpr_workgroup_id_y 0
		.amdhsa_system_sgpr_workgroup_id_z 0
		.amdhsa_system_sgpr_workgroup_info 0
		.amdhsa_system_vgpr_workitem_id 0
		.amdhsa_next_free_vgpr 59
		.amdhsa_next_free_sgpr 24
		.amdhsa_reserve_vcc 1
		.amdhsa_reserve_flat_scratch 0
		.amdhsa_float_round_mode_32 0
		.amdhsa_float_round_mode_16_64 0
		.amdhsa_float_denorm_mode_32 3
		.amdhsa_float_denorm_mode_16_64 3
		.amdhsa_dx10_clamp 1
		.amdhsa_ieee_mode 1
		.amdhsa_fp16_overflow 0
		.amdhsa_workgroup_processor_mode 1
		.amdhsa_memory_ordered 1
		.amdhsa_forward_progress 0
		.amdhsa_shared_vgpr_count 0
		.amdhsa_exception_fp_ieee_invalid_op 0
		.amdhsa_exception_fp_denorm_src 0
		.amdhsa_exception_fp_ieee_div_zero 0
		.amdhsa_exception_fp_ieee_overflow 0
		.amdhsa_exception_fp_ieee_underflow 0
		.amdhsa_exception_fp_ieee_inexact 0
		.amdhsa_exception_int_div_zero 0
	.end_amdhsa_kernel
	.text
.Lfunc_end0:
	.size	fft_rtc_fwd_len196_factors_4_7_7_wgs_56_tpt_28_dp_ip_CI_unitstride_sbrr_R2C_dirReg, .Lfunc_end0-fft_rtc_fwd_len196_factors_4_7_7_wgs_56_tpt_28_dp_ip_CI_unitstride_sbrr_R2C_dirReg
                                        ; -- End function
	.section	.AMDGPU.csdata,"",@progbits
; Kernel info:
; codeLenInByte = 5432
; NumSgprs: 26
; NumVgprs: 59
; ScratchSize: 0
; MemoryBound: 0
; FloatMode: 240
; IeeeMode: 1
; LDSByteSize: 0 bytes/workgroup (compile time only)
; SGPRBlocks: 3
; VGPRBlocks: 7
; NumSGPRsForWavesPerEU: 26
; NumVGPRsForWavesPerEU: 59
; Occupancy: 16
; WaveLimiterHint : 1
; COMPUTE_PGM_RSRC2:SCRATCH_EN: 0
; COMPUTE_PGM_RSRC2:USER_SGPR: 6
; COMPUTE_PGM_RSRC2:TRAP_HANDLER: 0
; COMPUTE_PGM_RSRC2:TGID_X_EN: 1
; COMPUTE_PGM_RSRC2:TGID_Y_EN: 0
; COMPUTE_PGM_RSRC2:TGID_Z_EN: 0
; COMPUTE_PGM_RSRC2:TIDIG_COMP_CNT: 0
	.text
	.p2alignl 6, 3214868480
	.fill 48, 4, 3214868480
	.type	__hip_cuid_429cf97fba658ab1,@object ; @__hip_cuid_429cf97fba658ab1
	.section	.bss,"aw",@nobits
	.globl	__hip_cuid_429cf97fba658ab1
__hip_cuid_429cf97fba658ab1:
	.byte	0                               ; 0x0
	.size	__hip_cuid_429cf97fba658ab1, 1

	.ident	"AMD clang version 19.0.0git (https://github.com/RadeonOpenCompute/llvm-project roc-6.4.0 25133 c7fe45cf4b819c5991fe208aaa96edf142730f1d)"
	.section	".note.GNU-stack","",@progbits
	.addrsig
	.addrsig_sym __hip_cuid_429cf97fba658ab1
	.amdgpu_metadata
---
amdhsa.kernels:
  - .args:
      - .actual_access:  read_only
        .address_space:  global
        .offset:         0
        .size:           8
        .value_kind:     global_buffer
      - .offset:         8
        .size:           8
        .value_kind:     by_value
      - .actual_access:  read_only
        .address_space:  global
        .offset:         16
        .size:           8
        .value_kind:     global_buffer
      - .actual_access:  read_only
        .address_space:  global
        .offset:         24
        .size:           8
        .value_kind:     global_buffer
      - .offset:         32
        .size:           8
        .value_kind:     by_value
      - .actual_access:  read_only
        .address_space:  global
        .offset:         40
        .size:           8
        .value_kind:     global_buffer
      - .actual_access:  read_only
        .address_space:  global
        .offset:         48
        .size:           8
        .value_kind:     global_buffer
      - .offset:         56
        .size:           4
        .value_kind:     by_value
      - .actual_access:  read_only
        .address_space:  global
        .offset:         64
        .size:           8
        .value_kind:     global_buffer
      - .actual_access:  read_only
        .address_space:  global
        .offset:         72
        .size:           8
        .value_kind:     global_buffer
      - .address_space:  global
        .offset:         80
        .size:           8
        .value_kind:     global_buffer
    .group_segment_fixed_size: 0
    .kernarg_segment_align: 8
    .kernarg_segment_size: 88
    .language:       OpenCL C
    .language_version:
      - 2
      - 0
    .max_flat_workgroup_size: 56
    .name:           fft_rtc_fwd_len196_factors_4_7_7_wgs_56_tpt_28_dp_ip_CI_unitstride_sbrr_R2C_dirReg
    .private_segment_fixed_size: 0
    .sgpr_count:     26
    .sgpr_spill_count: 0
    .symbol:         fft_rtc_fwd_len196_factors_4_7_7_wgs_56_tpt_28_dp_ip_CI_unitstride_sbrr_R2C_dirReg.kd
    .uniform_work_group_size: 1
    .uses_dynamic_stack: false
    .vgpr_count:     59
    .vgpr_spill_count: 0
    .wavefront_size: 32
    .workgroup_processor_mode: 1
amdhsa.target:   amdgcn-amd-amdhsa--gfx1030
amdhsa.version:
  - 1
  - 2
...

	.end_amdgpu_metadata
